;; amdgpu-corpus repo=ROCm/aiter kind=compiled arch=gfx950 opt=O3
	.amdgcn_target "amdgcn-amd-amdhsa--gfx950"
	.amdhsa_code_object_version 6
	.section	.text._Z30dtype_convert_fp32_bf16_kernelILi256EEvPKfPfi,"axG",@progbits,_Z30dtype_convert_fp32_bf16_kernelILi256EEvPKfPfi,comdat
	.protected	_Z30dtype_convert_fp32_bf16_kernelILi256EEvPKfPfi ; -- Begin function _Z30dtype_convert_fp32_bf16_kernelILi256EEvPKfPfi
	.globl	_Z30dtype_convert_fp32_bf16_kernelILi256EEvPKfPfi
	.p2align	8
	.type	_Z30dtype_convert_fp32_bf16_kernelILi256EEvPKfPfi,@function
_Z30dtype_convert_fp32_bf16_kernelILi256EEvPKfPfi: ; @_Z30dtype_convert_fp32_bf16_kernelILi256EEvPKfPfi
; %bb.0:
	s_load_dword s3, s[0:1], 0x10
	v_lshl_add_u32 v0, s2, 8, v0
	s_waitcnt lgkmcnt(0)
	v_cmp_gt_i32_e32 vcc, s3, v0
	s_and_saveexec_b64 s[2:3], vcc
	s_cbranch_execz .LBB0_2
; %bb.1:
	s_load_dwordx4 s[0:3], s[0:1], 0x0
	v_ashrrev_i32_e32 v1, 31, v0
	v_lshlrev_b64 v[0:1], 2, v[0:1]
	s_waitcnt lgkmcnt(0)
	v_lshl_add_u64 v[2:3], s[0:1], 0, v[0:1]
	global_load_dword v2, v[2:3], off
	v_lshl_add_u64 v[0:1], s[2:3], 0, v[0:1]
	s_waitcnt vmcnt(0)
	v_cvt_pk_bf16_f32 v2, v2, s0
	v_lshlrev_b32_e32 v2, 16, v2
	global_store_dword v[0:1], v2, off
.LBB0_2:
	s_endpgm
	.section	.rodata,"a",@progbits
	.p2align	6, 0x0
	.amdhsa_kernel _Z30dtype_convert_fp32_bf16_kernelILi256EEvPKfPfi
		.amdhsa_group_segment_fixed_size 0
		.amdhsa_private_segment_fixed_size 0
		.amdhsa_kernarg_size 20
		.amdhsa_user_sgpr_count 2
		.amdhsa_user_sgpr_dispatch_ptr 0
		.amdhsa_user_sgpr_queue_ptr 0
		.amdhsa_user_sgpr_kernarg_segment_ptr 1
		.amdhsa_user_sgpr_dispatch_id 0
		.amdhsa_user_sgpr_kernarg_preload_length 0
		.amdhsa_user_sgpr_kernarg_preload_offset 0
		.amdhsa_user_sgpr_private_segment_size 0
		.amdhsa_uses_dynamic_stack 0
		.amdhsa_enable_private_segment 0
		.amdhsa_system_sgpr_workgroup_id_x 1
		.amdhsa_system_sgpr_workgroup_id_y 0
		.amdhsa_system_sgpr_workgroup_id_z 0
		.amdhsa_system_sgpr_workgroup_info 0
		.amdhsa_system_vgpr_workitem_id 0
		.amdhsa_next_free_vgpr 4
		.amdhsa_next_free_sgpr 4
		.amdhsa_accum_offset 4
		.amdhsa_reserve_vcc 1
		.amdhsa_float_round_mode_32 0
		.amdhsa_float_round_mode_16_64 0
		.amdhsa_float_denorm_mode_32 3
		.amdhsa_float_denorm_mode_16_64 3
		.amdhsa_dx10_clamp 1
		.amdhsa_ieee_mode 1
		.amdhsa_fp16_overflow 0
		.amdhsa_tg_split 0
		.amdhsa_exception_fp_ieee_invalid_op 0
		.amdhsa_exception_fp_denorm_src 0
		.amdhsa_exception_fp_ieee_div_zero 0
		.amdhsa_exception_fp_ieee_overflow 0
		.amdhsa_exception_fp_ieee_underflow 0
		.amdhsa_exception_fp_ieee_inexact 0
		.amdhsa_exception_int_div_zero 0
	.end_amdhsa_kernel
	.section	.text._Z30dtype_convert_fp32_bf16_kernelILi256EEvPKfPfi,"axG",@progbits,_Z30dtype_convert_fp32_bf16_kernelILi256EEvPKfPfi,comdat
.Lfunc_end0:
	.size	_Z30dtype_convert_fp32_bf16_kernelILi256EEvPKfPfi, .Lfunc_end0-_Z30dtype_convert_fp32_bf16_kernelILi256EEvPKfPfi
                                        ; -- End function
	.set _Z30dtype_convert_fp32_bf16_kernelILi256EEvPKfPfi.num_vgpr, 4
	.set _Z30dtype_convert_fp32_bf16_kernelILi256EEvPKfPfi.num_agpr, 0
	.set _Z30dtype_convert_fp32_bf16_kernelILi256EEvPKfPfi.numbered_sgpr, 4
	.set _Z30dtype_convert_fp32_bf16_kernelILi256EEvPKfPfi.num_named_barrier, 0
	.set _Z30dtype_convert_fp32_bf16_kernelILi256EEvPKfPfi.private_seg_size, 0
	.set _Z30dtype_convert_fp32_bf16_kernelILi256EEvPKfPfi.uses_vcc, 1
	.set _Z30dtype_convert_fp32_bf16_kernelILi256EEvPKfPfi.uses_flat_scratch, 0
	.set _Z30dtype_convert_fp32_bf16_kernelILi256EEvPKfPfi.has_dyn_sized_stack, 0
	.set _Z30dtype_convert_fp32_bf16_kernelILi256EEvPKfPfi.has_recursion, 0
	.set _Z30dtype_convert_fp32_bf16_kernelILi256EEvPKfPfi.has_indirect_call, 0
	.section	.AMDGPU.csdata,"",@progbits
; Kernel info:
; codeLenInByte = 108
; TotalNumSgprs: 10
; NumVgprs: 4
; NumAgprs: 0
; TotalNumVgprs: 4
; ScratchSize: 0
; MemoryBound: 0
; FloatMode: 240
; IeeeMode: 1
; LDSByteSize: 0 bytes/workgroup (compile time only)
; SGPRBlocks: 1
; VGPRBlocks: 0
; NumSGPRsForWavesPerEU: 10
; NumVGPRsForWavesPerEU: 4
; AccumOffset: 4
; Occupancy: 8
; WaveLimiterHint : 0
; COMPUTE_PGM_RSRC2:SCRATCH_EN: 0
; COMPUTE_PGM_RSRC2:USER_SGPR: 2
; COMPUTE_PGM_RSRC2:TRAP_HANDLER: 0
; COMPUTE_PGM_RSRC2:TGID_X_EN: 1
; COMPUTE_PGM_RSRC2:TGID_Y_EN: 0
; COMPUTE_PGM_RSRC2:TGID_Z_EN: 0
; COMPUTE_PGM_RSRC2:TIDIG_COMP_CNT: 0
; COMPUTE_PGM_RSRC3_GFX90A:ACCUM_OFFSET: 0
; COMPUTE_PGM_RSRC3_GFX90A:TG_SPLIT: 0
	.section	.text._Z30dtype_convert_fp32_fp16_kernelILi256EEvPKfPfi,"axG",@progbits,_Z30dtype_convert_fp32_fp16_kernelILi256EEvPKfPfi,comdat
	.protected	_Z30dtype_convert_fp32_fp16_kernelILi256EEvPKfPfi ; -- Begin function _Z30dtype_convert_fp32_fp16_kernelILi256EEvPKfPfi
	.globl	_Z30dtype_convert_fp32_fp16_kernelILi256EEvPKfPfi
	.p2align	8
	.type	_Z30dtype_convert_fp32_fp16_kernelILi256EEvPKfPfi,@function
_Z30dtype_convert_fp32_fp16_kernelILi256EEvPKfPfi: ; @_Z30dtype_convert_fp32_fp16_kernelILi256EEvPKfPfi
; %bb.0:
	s_load_dword s3, s[0:1], 0x10
	v_lshl_add_u32 v0, s2, 8, v0
	s_waitcnt lgkmcnt(0)
	v_cmp_gt_i32_e32 vcc, s3, v0
	s_and_saveexec_b64 s[2:3], vcc
	s_cbranch_execz .LBB1_2
; %bb.1:
	s_load_dwordx4 s[0:3], s[0:1], 0x0
	v_ashrrev_i32_e32 v1, 31, v0
	v_lshlrev_b64 v[0:1], 2, v[0:1]
	s_waitcnt lgkmcnt(0)
	v_lshl_add_u64 v[2:3], s[0:1], 0, v[0:1]
	global_load_dword v2, v[2:3], off
	v_lshl_add_u64 v[0:1], s[2:3], 0, v[0:1]
	s_waitcnt vmcnt(0)
	v_cvt_f16_f32_e32 v2, v2
	v_cvt_f32_f16_e32 v2, v2
	global_store_dword v[0:1], v2, off
.LBB1_2:
	s_endpgm
	.section	.rodata,"a",@progbits
	.p2align	6, 0x0
	.amdhsa_kernel _Z30dtype_convert_fp32_fp16_kernelILi256EEvPKfPfi
		.amdhsa_group_segment_fixed_size 0
		.amdhsa_private_segment_fixed_size 0
		.amdhsa_kernarg_size 20
		.amdhsa_user_sgpr_count 2
		.amdhsa_user_sgpr_dispatch_ptr 0
		.amdhsa_user_sgpr_queue_ptr 0
		.amdhsa_user_sgpr_kernarg_segment_ptr 1
		.amdhsa_user_sgpr_dispatch_id 0
		.amdhsa_user_sgpr_kernarg_preload_length 0
		.amdhsa_user_sgpr_kernarg_preload_offset 0
		.amdhsa_user_sgpr_private_segment_size 0
		.amdhsa_uses_dynamic_stack 0
		.amdhsa_enable_private_segment 0
		.amdhsa_system_sgpr_workgroup_id_x 1
		.amdhsa_system_sgpr_workgroup_id_y 0
		.amdhsa_system_sgpr_workgroup_id_z 0
		.amdhsa_system_sgpr_workgroup_info 0
		.amdhsa_system_vgpr_workitem_id 0
		.amdhsa_next_free_vgpr 4
		.amdhsa_next_free_sgpr 4
		.amdhsa_accum_offset 4
		.amdhsa_reserve_vcc 1
		.amdhsa_float_round_mode_32 0
		.amdhsa_float_round_mode_16_64 0
		.amdhsa_float_denorm_mode_32 3
		.amdhsa_float_denorm_mode_16_64 3
		.amdhsa_dx10_clamp 1
		.amdhsa_ieee_mode 1
		.amdhsa_fp16_overflow 0
		.amdhsa_tg_split 0
		.amdhsa_exception_fp_ieee_invalid_op 0
		.amdhsa_exception_fp_denorm_src 0
		.amdhsa_exception_fp_ieee_div_zero 0
		.amdhsa_exception_fp_ieee_overflow 0
		.amdhsa_exception_fp_ieee_underflow 0
		.amdhsa_exception_fp_ieee_inexact 0
		.amdhsa_exception_int_div_zero 0
	.end_amdhsa_kernel
	.section	.text._Z30dtype_convert_fp32_fp16_kernelILi256EEvPKfPfi,"axG",@progbits,_Z30dtype_convert_fp32_fp16_kernelILi256EEvPKfPfi,comdat
.Lfunc_end1:
	.size	_Z30dtype_convert_fp32_fp16_kernelILi256EEvPKfPfi, .Lfunc_end1-_Z30dtype_convert_fp32_fp16_kernelILi256EEvPKfPfi
                                        ; -- End function
	.set _Z30dtype_convert_fp32_fp16_kernelILi256EEvPKfPfi.num_vgpr, 4
	.set _Z30dtype_convert_fp32_fp16_kernelILi256EEvPKfPfi.num_agpr, 0
	.set _Z30dtype_convert_fp32_fp16_kernelILi256EEvPKfPfi.numbered_sgpr, 4
	.set _Z30dtype_convert_fp32_fp16_kernelILi256EEvPKfPfi.num_named_barrier, 0
	.set _Z30dtype_convert_fp32_fp16_kernelILi256EEvPKfPfi.private_seg_size, 0
	.set _Z30dtype_convert_fp32_fp16_kernelILi256EEvPKfPfi.uses_vcc, 1
	.set _Z30dtype_convert_fp32_fp16_kernelILi256EEvPKfPfi.uses_flat_scratch, 0
	.set _Z30dtype_convert_fp32_fp16_kernelILi256EEvPKfPfi.has_dyn_sized_stack, 0
	.set _Z30dtype_convert_fp32_fp16_kernelILi256EEvPKfPfi.has_recursion, 0
	.set _Z30dtype_convert_fp32_fp16_kernelILi256EEvPKfPfi.has_indirect_call, 0
	.section	.AMDGPU.csdata,"",@progbits
; Kernel info:
; codeLenInByte = 104
; TotalNumSgprs: 10
; NumVgprs: 4
; NumAgprs: 0
; TotalNumVgprs: 4
; ScratchSize: 0
; MemoryBound: 0
; FloatMode: 240
; IeeeMode: 1
; LDSByteSize: 0 bytes/workgroup (compile time only)
; SGPRBlocks: 1
; VGPRBlocks: 0
; NumSGPRsForWavesPerEU: 10
; NumVGPRsForWavesPerEU: 4
; AccumOffset: 4
; Occupancy: 8
; WaveLimiterHint : 0
; COMPUTE_PGM_RSRC2:SCRATCH_EN: 0
; COMPUTE_PGM_RSRC2:USER_SGPR: 2
; COMPUTE_PGM_RSRC2:TRAP_HANDLER: 0
; COMPUTE_PGM_RSRC2:TGID_X_EN: 1
; COMPUTE_PGM_RSRC2:TGID_Y_EN: 0
; COMPUTE_PGM_RSRC2:TGID_Z_EN: 0
; COMPUTE_PGM_RSRC2:TIDIG_COMP_CNT: 0
; COMPUTE_PGM_RSRC3_GFX90A:ACCUM_OFFSET: 0
; COMPUTE_PGM_RSRC3_GFX90A:TG_SPLIT: 0
	.section	.text._Z29dtype_convert_fp32_fp8_kernelILi256EEvPKfPfi,"axG",@progbits,_Z29dtype_convert_fp32_fp8_kernelILi256EEvPKfPfi,comdat
	.protected	_Z29dtype_convert_fp32_fp8_kernelILi256EEvPKfPfi ; -- Begin function _Z29dtype_convert_fp32_fp8_kernelILi256EEvPKfPfi
	.globl	_Z29dtype_convert_fp32_fp8_kernelILi256EEvPKfPfi
	.p2align	8
	.type	_Z29dtype_convert_fp32_fp8_kernelILi256EEvPKfPfi,@function
_Z29dtype_convert_fp32_fp8_kernelILi256EEvPKfPfi: ; @_Z29dtype_convert_fp32_fp8_kernelILi256EEvPKfPfi
; %bb.0:
	s_load_dword s3, s[0:1], 0x10
	v_lshlrev_b32_e32 v0, 2, v0
	v_lshl_add_u32 v0, s2, 10, v0
	s_waitcnt lgkmcnt(0)
	v_cmp_gt_i32_e32 vcc, s3, v0
	s_and_saveexec_b64 s[2:3], vcc
	s_cbranch_execz .LBB2_2
; %bb.1:
	s_load_dwordx4 s[0:3], s[0:1], 0x0
	v_ashrrev_i32_e32 v1, 31, v0
	v_lshlrev_b64 v[4:5], 2, v[0:1]
	s_waitcnt lgkmcnt(0)
	v_lshl_add_u64 v[0:1], s[0:1], 0, v[4:5]
	global_load_dwordx4 v[0:3], v[0:1], off
	v_lshl_add_u64 v[4:5], s[2:3], 0, v[4:5]
	s_waitcnt vmcnt(0)
	v_cvt_pk_fp8_f32 v6, v0, v1
	v_cvt_pk_fp8_f32 v6, v2, v3 op_sel:[0,0,1]
	s_nop 0
	v_cvt_pk_f32_fp8_e32 v[0:1], v6
	v_cvt_pk_f32_fp8_sdwa v[2:3], v6 src0_sel:WORD_1
	global_store_dwordx4 v[4:5], v[0:3], off
.LBB2_2:
	s_endpgm
	.section	.rodata,"a",@progbits
	.p2align	6, 0x0
	.amdhsa_kernel _Z29dtype_convert_fp32_fp8_kernelILi256EEvPKfPfi
		.amdhsa_group_segment_fixed_size 0
		.amdhsa_private_segment_fixed_size 0
		.amdhsa_kernarg_size 20
		.amdhsa_user_sgpr_count 2
		.amdhsa_user_sgpr_dispatch_ptr 0
		.amdhsa_user_sgpr_queue_ptr 0
		.amdhsa_user_sgpr_kernarg_segment_ptr 1
		.amdhsa_user_sgpr_dispatch_id 0
		.amdhsa_user_sgpr_kernarg_preload_length 0
		.amdhsa_user_sgpr_kernarg_preload_offset 0
		.amdhsa_user_sgpr_private_segment_size 0
		.amdhsa_uses_dynamic_stack 0
		.amdhsa_enable_private_segment 0
		.amdhsa_system_sgpr_workgroup_id_x 1
		.amdhsa_system_sgpr_workgroup_id_y 0
		.amdhsa_system_sgpr_workgroup_id_z 0
		.amdhsa_system_sgpr_workgroup_info 0
		.amdhsa_system_vgpr_workitem_id 0
		.amdhsa_next_free_vgpr 7
		.amdhsa_next_free_sgpr 4
		.amdhsa_accum_offset 8
		.amdhsa_reserve_vcc 1
		.amdhsa_float_round_mode_32 0
		.amdhsa_float_round_mode_16_64 0
		.amdhsa_float_denorm_mode_32 3
		.amdhsa_float_denorm_mode_16_64 3
		.amdhsa_dx10_clamp 1
		.amdhsa_ieee_mode 1
		.amdhsa_fp16_overflow 0
		.amdhsa_tg_split 0
		.amdhsa_exception_fp_ieee_invalid_op 0
		.amdhsa_exception_fp_denorm_src 0
		.amdhsa_exception_fp_ieee_div_zero 0
		.amdhsa_exception_fp_ieee_overflow 0
		.amdhsa_exception_fp_ieee_underflow 0
		.amdhsa_exception_fp_ieee_inexact 0
		.amdhsa_exception_int_div_zero 0
	.end_amdhsa_kernel
	.section	.text._Z29dtype_convert_fp32_fp8_kernelILi256EEvPKfPfi,"axG",@progbits,_Z29dtype_convert_fp32_fp8_kernelILi256EEvPKfPfi,comdat
.Lfunc_end2:
	.size	_Z29dtype_convert_fp32_fp8_kernelILi256EEvPKfPfi, .Lfunc_end2-_Z29dtype_convert_fp32_fp8_kernelILi256EEvPKfPfi
                                        ; -- End function
	.set _Z29dtype_convert_fp32_fp8_kernelILi256EEvPKfPfi.num_vgpr, 7
	.set _Z29dtype_convert_fp32_fp8_kernelILi256EEvPKfPfi.num_agpr, 0
	.set _Z29dtype_convert_fp32_fp8_kernelILi256EEvPKfPfi.numbered_sgpr, 4
	.set _Z29dtype_convert_fp32_fp8_kernelILi256EEvPKfPfi.num_named_barrier, 0
	.set _Z29dtype_convert_fp32_fp8_kernelILi256EEvPKfPfi.private_seg_size, 0
	.set _Z29dtype_convert_fp32_fp8_kernelILi256EEvPKfPfi.uses_vcc, 1
	.set _Z29dtype_convert_fp32_fp8_kernelILi256EEvPKfPfi.uses_flat_scratch, 0
	.set _Z29dtype_convert_fp32_fp8_kernelILi256EEvPKfPfi.has_dyn_sized_stack, 0
	.set _Z29dtype_convert_fp32_fp8_kernelILi256EEvPKfPfi.has_recursion, 0
	.set _Z29dtype_convert_fp32_fp8_kernelILi256EEvPKfPfi.has_indirect_call, 0
	.section	.AMDGPU.csdata,"",@progbits
; Kernel info:
; codeLenInByte = 132
; TotalNumSgprs: 10
; NumVgprs: 7
; NumAgprs: 0
; TotalNumVgprs: 7
; ScratchSize: 0
; MemoryBound: 0
; FloatMode: 240
; IeeeMode: 1
; LDSByteSize: 0 bytes/workgroup (compile time only)
; SGPRBlocks: 1
; VGPRBlocks: 0
; NumSGPRsForWavesPerEU: 10
; NumVGPRsForWavesPerEU: 7
; AccumOffset: 8
; Occupancy: 8
; WaveLimiterHint : 0
; COMPUTE_PGM_RSRC2:SCRATCH_EN: 0
; COMPUTE_PGM_RSRC2:USER_SGPR: 2
; COMPUTE_PGM_RSRC2:TRAP_HANDLER: 0
; COMPUTE_PGM_RSRC2:TGID_X_EN: 1
; COMPUTE_PGM_RSRC2:TGID_Y_EN: 0
; COMPUTE_PGM_RSRC2:TGID_Z_EN: 0
; COMPUTE_PGM_RSRC2:TIDIG_COMP_CNT: 0
; COMPUTE_PGM_RSRC3_GFX90A:ACCUM_OFFSET: 1
; COMPUTE_PGM_RSRC3_GFX90A:TG_SPLIT: 0
	.section	.text._Z29dtype_convert_fp32_fp4_kernelILi256EEvPKfPfi,"axG",@progbits,_Z29dtype_convert_fp32_fp4_kernelILi256EEvPKfPfi,comdat
	.protected	_Z29dtype_convert_fp32_fp4_kernelILi256EEvPKfPfi ; -- Begin function _Z29dtype_convert_fp32_fp4_kernelILi256EEvPKfPfi
	.globl	_Z29dtype_convert_fp32_fp4_kernelILi256EEvPKfPfi
	.p2align	8
	.type	_Z29dtype_convert_fp32_fp4_kernelILi256EEvPKfPfi,@function
_Z29dtype_convert_fp32_fp4_kernelILi256EEvPKfPfi: ; @_Z29dtype_convert_fp32_fp4_kernelILi256EEvPKfPfi
; %bb.0:
	s_load_dword s3, s[0:1], 0x10
	v_lshlrev_b32_e32 v0, 3, v0
	v_lshl_add_u32 v0, s2, 11, v0
	s_waitcnt lgkmcnt(0)
	v_cmp_gt_i32_e32 vcc, s3, v0
	s_and_saveexec_b64 s[2:3], vcc
	s_cbranch_execz .LBB3_2
; %bb.1:
	s_load_dwordx4 s[0:3], s[0:1], 0x0
	v_ashrrev_i32_e32 v1, 31, v0
	v_lshlrev_b64 v[8:9], 2, v[0:1]
	s_waitcnt lgkmcnt(0)
	v_lshl_add_u64 v[10:11], s[0:1], 0, v[8:9]
	global_load_dwordx4 v[0:3], v[10:11], off
	global_load_dwordx4 v[4:7], v[10:11], off offset:16
	v_lshl_add_u64 v[8:9], s[2:3], 0, v[8:9]
	s_waitcnt vmcnt(1)
	v_cvt_scalef32_pk_fp4_f32 v10, v0, v1, 1.0
	v_cvt_scalef32_pk_fp4_f32 v10, v2, v3, 1.0 op_sel:[0,0,1,0]
	s_waitcnt vmcnt(0)
	v_cvt_scalef32_pk_fp4_f32 v10, v4, v5, 1.0 op_sel:[0,0,0,1]
	s_nop 0
	v_cvt_scalef32_pk_fp4_f32 v10, v6, v7, 1.0 op_sel:[0,0,1,1]
	s_nop 0
	v_cvt_scalef32_pk_f32_fp4 v[0:1], v10, 1.0
	v_cvt_scalef32_pk_f32_fp4 v[2:3], v10, 1.0 op_sel:[1,0,0]
	v_cvt_scalef32_pk_f32_fp4 v[4:5], v10, 1.0 op_sel:[0,1,0]
	;; [unrolled: 1-line block ×3, first 2 shown]
	global_store_dwordx4 v[8:9], v[0:3], off
	global_store_dwordx4 v[8:9], v[4:7], off offset:16
.LBB3_2:
	s_endpgm
	.section	.rodata,"a",@progbits
	.p2align	6, 0x0
	.amdhsa_kernel _Z29dtype_convert_fp32_fp4_kernelILi256EEvPKfPfi
		.amdhsa_group_segment_fixed_size 0
		.amdhsa_private_segment_fixed_size 0
		.amdhsa_kernarg_size 20
		.amdhsa_user_sgpr_count 2
		.amdhsa_user_sgpr_dispatch_ptr 0
		.amdhsa_user_sgpr_queue_ptr 0
		.amdhsa_user_sgpr_kernarg_segment_ptr 1
		.amdhsa_user_sgpr_dispatch_id 0
		.amdhsa_user_sgpr_kernarg_preload_length 0
		.amdhsa_user_sgpr_kernarg_preload_offset 0
		.amdhsa_user_sgpr_private_segment_size 0
		.amdhsa_uses_dynamic_stack 0
		.amdhsa_enable_private_segment 0
		.amdhsa_system_sgpr_workgroup_id_x 1
		.amdhsa_system_sgpr_workgroup_id_y 0
		.amdhsa_system_sgpr_workgroup_id_z 0
		.amdhsa_system_sgpr_workgroup_info 0
		.amdhsa_system_vgpr_workitem_id 0
		.amdhsa_next_free_vgpr 12
		.amdhsa_next_free_sgpr 4
		.amdhsa_accum_offset 12
		.amdhsa_reserve_vcc 1
		.amdhsa_float_round_mode_32 0
		.amdhsa_float_round_mode_16_64 0
		.amdhsa_float_denorm_mode_32 3
		.amdhsa_float_denorm_mode_16_64 3
		.amdhsa_dx10_clamp 1
		.amdhsa_ieee_mode 1
		.amdhsa_fp16_overflow 0
		.amdhsa_tg_split 0
		.amdhsa_exception_fp_ieee_invalid_op 0
		.amdhsa_exception_fp_denorm_src 0
		.amdhsa_exception_fp_ieee_div_zero 0
		.amdhsa_exception_fp_ieee_overflow 0
		.amdhsa_exception_fp_ieee_underflow 0
		.amdhsa_exception_fp_ieee_inexact 0
		.amdhsa_exception_int_div_zero 0
	.end_amdhsa_kernel
	.section	.text._Z29dtype_convert_fp32_fp4_kernelILi256EEvPKfPfi,"axG",@progbits,_Z29dtype_convert_fp32_fp4_kernelILi256EEvPKfPfi,comdat
.Lfunc_end3:
	.size	_Z29dtype_convert_fp32_fp4_kernelILi256EEvPKfPfi, .Lfunc_end3-_Z29dtype_convert_fp32_fp4_kernelILi256EEvPKfPfi
                                        ; -- End function
	.set _Z29dtype_convert_fp32_fp4_kernelILi256EEvPKfPfi.num_vgpr, 12
	.set _Z29dtype_convert_fp32_fp4_kernelILi256EEvPKfPfi.num_agpr, 0
	.set _Z29dtype_convert_fp32_fp4_kernelILi256EEvPKfPfi.numbered_sgpr, 4
	.set _Z29dtype_convert_fp32_fp4_kernelILi256EEvPKfPfi.num_named_barrier, 0
	.set _Z29dtype_convert_fp32_fp4_kernelILi256EEvPKfPfi.private_seg_size, 0
	.set _Z29dtype_convert_fp32_fp4_kernelILi256EEvPKfPfi.uses_vcc, 1
	.set _Z29dtype_convert_fp32_fp4_kernelILi256EEvPKfPfi.uses_flat_scratch, 0
	.set _Z29dtype_convert_fp32_fp4_kernelILi256EEvPKfPfi.has_dyn_sized_stack, 0
	.set _Z29dtype_convert_fp32_fp4_kernelILi256EEvPKfPfi.has_recursion, 0
	.set _Z29dtype_convert_fp32_fp4_kernelILi256EEvPKfPfi.has_indirect_call, 0
	.section	.AMDGPU.csdata,"",@progbits
; Kernel info:
; codeLenInByte = 192
; TotalNumSgprs: 10
; NumVgprs: 12
; NumAgprs: 0
; TotalNumVgprs: 12
; ScratchSize: 0
; MemoryBound: 0
; FloatMode: 240
; IeeeMode: 1
; LDSByteSize: 0 bytes/workgroup (compile time only)
; SGPRBlocks: 1
; VGPRBlocks: 1
; NumSGPRsForWavesPerEU: 10
; NumVGPRsForWavesPerEU: 12
; AccumOffset: 12
; Occupancy: 8
; WaveLimiterHint : 0
; COMPUTE_PGM_RSRC2:SCRATCH_EN: 0
; COMPUTE_PGM_RSRC2:USER_SGPR: 2
; COMPUTE_PGM_RSRC2:TRAP_HANDLER: 0
; COMPUTE_PGM_RSRC2:TGID_X_EN: 1
; COMPUTE_PGM_RSRC2:TGID_Y_EN: 0
; COMPUTE_PGM_RSRC2:TGID_Z_EN: 0
; COMPUTE_PGM_RSRC2:TIDIG_COMP_CNT: 0
; COMPUTE_PGM_RSRC3_GFX90A:ACCUM_OFFSET: 2
; COMPUTE_PGM_RSRC3_GFX90A:TG_SPLIT: 0
	.section	.text._Z36dtype_convert_fp32_fp8_scalar_kernelILi256EEvPKfPfi,"axG",@progbits,_Z36dtype_convert_fp32_fp8_scalar_kernelILi256EEvPKfPfi,comdat
	.protected	_Z36dtype_convert_fp32_fp8_scalar_kernelILi256EEvPKfPfi ; -- Begin function _Z36dtype_convert_fp32_fp8_scalar_kernelILi256EEvPKfPfi
	.globl	_Z36dtype_convert_fp32_fp8_scalar_kernelILi256EEvPKfPfi
	.p2align	8
	.type	_Z36dtype_convert_fp32_fp8_scalar_kernelILi256EEvPKfPfi,@function
_Z36dtype_convert_fp32_fp8_scalar_kernelILi256EEvPKfPfi: ; @_Z36dtype_convert_fp32_fp8_scalar_kernelILi256EEvPKfPfi
; %bb.0:
	s_load_dword s3, s[0:1], 0x10
	v_lshl_add_u32 v0, s2, 8, v0
	s_waitcnt lgkmcnt(0)
	v_cmp_gt_i32_e32 vcc, s3, v0
	s_and_saveexec_b64 s[2:3], vcc
	s_cbranch_execz .LBB4_2
; %bb.1:
	s_load_dwordx4 s[0:3], s[0:1], 0x0
	v_ashrrev_i32_e32 v1, 31, v0
	v_lshlrev_b64 v[0:1], 2, v[0:1]
	s_waitcnt lgkmcnt(0)
	v_lshl_add_u64 v[2:3], s[0:1], 0, v[0:1]
	global_load_dword v2, v[2:3], off
	v_lshl_add_u64 v[0:1], s[2:3], 0, v[0:1]
	s_waitcnt vmcnt(0)
	v_cvt_pk_fp8_f32 v2, v2, 0
	v_and_b32_e32 v2, 0xff, v2
	v_cvt_f32_fp8_e32 v2, v2
	global_store_dword v[0:1], v2, off
.LBB4_2:
	s_endpgm
	.section	.rodata,"a",@progbits
	.p2align	6, 0x0
	.amdhsa_kernel _Z36dtype_convert_fp32_fp8_scalar_kernelILi256EEvPKfPfi
		.amdhsa_group_segment_fixed_size 0
		.amdhsa_private_segment_fixed_size 0
		.amdhsa_kernarg_size 20
		.amdhsa_user_sgpr_count 2
		.amdhsa_user_sgpr_dispatch_ptr 0
		.amdhsa_user_sgpr_queue_ptr 0
		.amdhsa_user_sgpr_kernarg_segment_ptr 1
		.amdhsa_user_sgpr_dispatch_id 0
		.amdhsa_user_sgpr_kernarg_preload_length 0
		.amdhsa_user_sgpr_kernarg_preload_offset 0
		.amdhsa_user_sgpr_private_segment_size 0
		.amdhsa_uses_dynamic_stack 0
		.amdhsa_enable_private_segment 0
		.amdhsa_system_sgpr_workgroup_id_x 1
		.amdhsa_system_sgpr_workgroup_id_y 0
		.amdhsa_system_sgpr_workgroup_id_z 0
		.amdhsa_system_sgpr_workgroup_info 0
		.amdhsa_system_vgpr_workitem_id 0
		.amdhsa_next_free_vgpr 4
		.amdhsa_next_free_sgpr 4
		.amdhsa_accum_offset 4
		.amdhsa_reserve_vcc 1
		.amdhsa_float_round_mode_32 0
		.amdhsa_float_round_mode_16_64 0
		.amdhsa_float_denorm_mode_32 3
		.amdhsa_float_denorm_mode_16_64 3
		.amdhsa_dx10_clamp 1
		.amdhsa_ieee_mode 1
		.amdhsa_fp16_overflow 0
		.amdhsa_tg_split 0
		.amdhsa_exception_fp_ieee_invalid_op 0
		.amdhsa_exception_fp_denorm_src 0
		.amdhsa_exception_fp_ieee_div_zero 0
		.amdhsa_exception_fp_ieee_overflow 0
		.amdhsa_exception_fp_ieee_underflow 0
		.amdhsa_exception_fp_ieee_inexact 0
		.amdhsa_exception_int_div_zero 0
	.end_amdhsa_kernel
	.section	.text._Z36dtype_convert_fp32_fp8_scalar_kernelILi256EEvPKfPfi,"axG",@progbits,_Z36dtype_convert_fp32_fp8_scalar_kernelILi256EEvPKfPfi,comdat
.Lfunc_end4:
	.size	_Z36dtype_convert_fp32_fp8_scalar_kernelILi256EEvPKfPfi, .Lfunc_end4-_Z36dtype_convert_fp32_fp8_scalar_kernelILi256EEvPKfPfi
                                        ; -- End function
	.set _Z36dtype_convert_fp32_fp8_scalar_kernelILi256EEvPKfPfi.num_vgpr, 4
	.set _Z36dtype_convert_fp32_fp8_scalar_kernelILi256EEvPKfPfi.num_agpr, 0
	.set _Z36dtype_convert_fp32_fp8_scalar_kernelILi256EEvPKfPfi.numbered_sgpr, 4
	.set _Z36dtype_convert_fp32_fp8_scalar_kernelILi256EEvPKfPfi.num_named_barrier, 0
	.set _Z36dtype_convert_fp32_fp8_scalar_kernelILi256EEvPKfPfi.private_seg_size, 0
	.set _Z36dtype_convert_fp32_fp8_scalar_kernelILi256EEvPKfPfi.uses_vcc, 1
	.set _Z36dtype_convert_fp32_fp8_scalar_kernelILi256EEvPKfPfi.uses_flat_scratch, 0
	.set _Z36dtype_convert_fp32_fp8_scalar_kernelILi256EEvPKfPfi.has_dyn_sized_stack, 0
	.set _Z36dtype_convert_fp32_fp8_scalar_kernelILi256EEvPKfPfi.has_recursion, 0
	.set _Z36dtype_convert_fp32_fp8_scalar_kernelILi256EEvPKfPfi.has_indirect_call, 0
	.section	.AMDGPU.csdata,"",@progbits
; Kernel info:
; codeLenInByte = 116
; TotalNumSgprs: 10
; NumVgprs: 4
; NumAgprs: 0
; TotalNumVgprs: 4
; ScratchSize: 0
; MemoryBound: 0
; FloatMode: 240
; IeeeMode: 1
; LDSByteSize: 0 bytes/workgroup (compile time only)
; SGPRBlocks: 1
; VGPRBlocks: 0
; NumSGPRsForWavesPerEU: 10
; NumVGPRsForWavesPerEU: 4
; AccumOffset: 4
; Occupancy: 8
; WaveLimiterHint : 0
; COMPUTE_PGM_RSRC2:SCRATCH_EN: 0
; COMPUTE_PGM_RSRC2:USER_SGPR: 2
; COMPUTE_PGM_RSRC2:TRAP_HANDLER: 0
; COMPUTE_PGM_RSRC2:TGID_X_EN: 1
; COMPUTE_PGM_RSRC2:TGID_Y_EN: 0
; COMPUTE_PGM_RSRC2:TGID_Z_EN: 0
; COMPUTE_PGM_RSRC2:TIDIG_COMP_CNT: 0
; COMPUTE_PGM_RSRC3_GFX90A:ACCUM_OFFSET: 0
; COMPUTE_PGM_RSRC3_GFX90A:TG_SPLIT: 0
	.section	.text._Z35dtype_convert_fp32_bf16_vec4_kernelILi256EEvPKfPfi,"axG",@progbits,_Z35dtype_convert_fp32_bf16_vec4_kernelILi256EEvPKfPfi,comdat
	.protected	_Z35dtype_convert_fp32_bf16_vec4_kernelILi256EEvPKfPfi ; -- Begin function _Z35dtype_convert_fp32_bf16_vec4_kernelILi256EEvPKfPfi
	.globl	_Z35dtype_convert_fp32_bf16_vec4_kernelILi256EEvPKfPfi
	.p2align	8
	.type	_Z35dtype_convert_fp32_bf16_vec4_kernelILi256EEvPKfPfi,@function
_Z35dtype_convert_fp32_bf16_vec4_kernelILi256EEvPKfPfi: ; @_Z35dtype_convert_fp32_bf16_vec4_kernelILi256EEvPKfPfi
; %bb.0:
	s_load_dword s3, s[0:1], 0x10
	v_lshlrev_b32_e32 v0, 2, v0
	v_lshl_add_u32 v0, s2, 10, v0
	s_waitcnt lgkmcnt(0)
	v_cmp_gt_i32_e32 vcc, s3, v0
	s_and_saveexec_b64 s[2:3], vcc
	s_cbranch_execz .LBB5_2
; %bb.1:
	s_load_dwordx4 s[0:3], s[0:1], 0x0
	v_ashrrev_i32_e32 v1, 31, v0
	v_lshlrev_b64 v[4:5], 2, v[0:1]
	s_waitcnt lgkmcnt(0)
	v_lshl_add_u64 v[0:1], s[0:1], 0, v[4:5]
	global_load_dwordx4 v[0:3], v[0:1], off
	v_lshl_add_u64 v[4:5], s[2:3], 0, v[4:5]
	s_waitcnt vmcnt(0)
	v_cvt_pk_bf16_f32 v0, v0, v1
	v_cvt_pk_bf16_f32 v2, v2, v3
	v_and_b32_e32 v1, 0xffff0000, v0
	v_lshlrev_b32_e32 v0, 16, v0
	v_and_b32_e32 v3, 0xffff0000, v2
	v_lshlrev_b32_e32 v2, 16, v2
	global_store_dwordx4 v[4:5], v[0:3], off
.LBB5_2:
	s_endpgm
	.section	.rodata,"a",@progbits
	.p2align	6, 0x0
	.amdhsa_kernel _Z35dtype_convert_fp32_bf16_vec4_kernelILi256EEvPKfPfi
		.amdhsa_group_segment_fixed_size 0
		.amdhsa_private_segment_fixed_size 0
		.amdhsa_kernarg_size 20
		.amdhsa_user_sgpr_count 2
		.amdhsa_user_sgpr_dispatch_ptr 0
		.amdhsa_user_sgpr_queue_ptr 0
		.amdhsa_user_sgpr_kernarg_segment_ptr 1
		.amdhsa_user_sgpr_dispatch_id 0
		.amdhsa_user_sgpr_kernarg_preload_length 0
		.amdhsa_user_sgpr_kernarg_preload_offset 0
		.amdhsa_user_sgpr_private_segment_size 0
		.amdhsa_uses_dynamic_stack 0
		.amdhsa_enable_private_segment 0
		.amdhsa_system_sgpr_workgroup_id_x 1
		.amdhsa_system_sgpr_workgroup_id_y 0
		.amdhsa_system_sgpr_workgroup_id_z 0
		.amdhsa_system_sgpr_workgroup_info 0
		.amdhsa_system_vgpr_workitem_id 0
		.amdhsa_next_free_vgpr 6
		.amdhsa_next_free_sgpr 4
		.amdhsa_accum_offset 8
		.amdhsa_reserve_vcc 1
		.amdhsa_float_round_mode_32 0
		.amdhsa_float_round_mode_16_64 0
		.amdhsa_float_denorm_mode_32 3
		.amdhsa_float_denorm_mode_16_64 3
		.amdhsa_dx10_clamp 1
		.amdhsa_ieee_mode 1
		.amdhsa_fp16_overflow 0
		.amdhsa_tg_split 0
		.amdhsa_exception_fp_ieee_invalid_op 0
		.amdhsa_exception_fp_denorm_src 0
		.amdhsa_exception_fp_ieee_div_zero 0
		.amdhsa_exception_fp_ieee_overflow 0
		.amdhsa_exception_fp_ieee_underflow 0
		.amdhsa_exception_fp_ieee_inexact 0
		.amdhsa_exception_int_div_zero 0
	.end_amdhsa_kernel
	.section	.text._Z35dtype_convert_fp32_bf16_vec4_kernelILi256EEvPKfPfi,"axG",@progbits,_Z35dtype_convert_fp32_bf16_vec4_kernelILi256EEvPKfPfi,comdat
.Lfunc_end5:
	.size	_Z35dtype_convert_fp32_bf16_vec4_kernelILi256EEvPKfPfi, .Lfunc_end5-_Z35dtype_convert_fp32_bf16_vec4_kernelILi256EEvPKfPfi
                                        ; -- End function
	.set _Z35dtype_convert_fp32_bf16_vec4_kernelILi256EEvPKfPfi.num_vgpr, 6
	.set _Z35dtype_convert_fp32_bf16_vec4_kernelILi256EEvPKfPfi.num_agpr, 0
	.set _Z35dtype_convert_fp32_bf16_vec4_kernelILi256EEvPKfPfi.numbered_sgpr, 4
	.set _Z35dtype_convert_fp32_bf16_vec4_kernelILi256EEvPKfPfi.num_named_barrier, 0
	.set _Z35dtype_convert_fp32_bf16_vec4_kernelILi256EEvPKfPfi.private_seg_size, 0
	.set _Z35dtype_convert_fp32_bf16_vec4_kernelILi256EEvPKfPfi.uses_vcc, 1
	.set _Z35dtype_convert_fp32_bf16_vec4_kernelILi256EEvPKfPfi.uses_flat_scratch, 0
	.set _Z35dtype_convert_fp32_bf16_vec4_kernelILi256EEvPKfPfi.has_dyn_sized_stack, 0
	.set _Z35dtype_convert_fp32_bf16_vec4_kernelILi256EEvPKfPfi.has_recursion, 0
	.set _Z35dtype_convert_fp32_bf16_vec4_kernelILi256EEvPKfPfi.has_indirect_call, 0
	.section	.AMDGPU.csdata,"",@progbits
; Kernel info:
; codeLenInByte = 140
; TotalNumSgprs: 10
; NumVgprs: 6
; NumAgprs: 0
; TotalNumVgprs: 6
; ScratchSize: 0
; MemoryBound: 0
; FloatMode: 240
; IeeeMode: 1
; LDSByteSize: 0 bytes/workgroup (compile time only)
; SGPRBlocks: 1
; VGPRBlocks: 0
; NumSGPRsForWavesPerEU: 10
; NumVGPRsForWavesPerEU: 6
; AccumOffset: 8
; Occupancy: 8
; WaveLimiterHint : 0
; COMPUTE_PGM_RSRC2:SCRATCH_EN: 0
; COMPUTE_PGM_RSRC2:USER_SGPR: 2
; COMPUTE_PGM_RSRC2:TRAP_HANDLER: 0
; COMPUTE_PGM_RSRC2:TGID_X_EN: 1
; COMPUTE_PGM_RSRC2:TGID_Y_EN: 0
; COMPUTE_PGM_RSRC2:TGID_Z_EN: 0
; COMPUTE_PGM_RSRC2:TIDIG_COMP_CNT: 0
; COMPUTE_PGM_RSRC3_GFX90A:ACCUM_OFFSET: 1
; COMPUTE_PGM_RSRC3_GFX90A:TG_SPLIT: 0
	.section	.text._Z35dtype_convert_fp32_fp16_vec4_kernelILi256EEvPKfPfi,"axG",@progbits,_Z35dtype_convert_fp32_fp16_vec4_kernelILi256EEvPKfPfi,comdat
	.protected	_Z35dtype_convert_fp32_fp16_vec4_kernelILi256EEvPKfPfi ; -- Begin function _Z35dtype_convert_fp32_fp16_vec4_kernelILi256EEvPKfPfi
	.globl	_Z35dtype_convert_fp32_fp16_vec4_kernelILi256EEvPKfPfi
	.p2align	8
	.type	_Z35dtype_convert_fp32_fp16_vec4_kernelILi256EEvPKfPfi,@function
_Z35dtype_convert_fp32_fp16_vec4_kernelILi256EEvPKfPfi: ; @_Z35dtype_convert_fp32_fp16_vec4_kernelILi256EEvPKfPfi
; %bb.0:
	s_load_dword s3, s[0:1], 0x10
	v_lshlrev_b32_e32 v0, 2, v0
	v_lshl_add_u32 v0, s2, 10, v0
	s_waitcnt lgkmcnt(0)
	v_cmp_gt_i32_e32 vcc, s3, v0
	s_and_saveexec_b64 s[2:3], vcc
	s_cbranch_execz .LBB6_2
; %bb.1:
	s_load_dwordx4 s[0:3], s[0:1], 0x0
	v_ashrrev_i32_e32 v1, 31, v0
	v_lshlrev_b64 v[4:5], 2, v[0:1]
	s_waitcnt lgkmcnt(0)
	v_lshl_add_u64 v[0:1], s[0:1], 0, v[4:5]
	global_load_dwordx4 v[0:3], v[0:1], off
	v_lshl_add_u64 v[4:5], s[2:3], 0, v[4:5]
	s_waitcnt vmcnt(0)
	v_cvt_pk_f16_f32 v1, v0, v1
	v_cvt_pk_f16_f32 v3, v2, v3
	v_cvt_f32_f16_e32 v0, v1
	v_cvt_f32_f16_sdwa v1, v1 dst_sel:DWORD dst_unused:UNUSED_PAD src0_sel:WORD_1
	v_cvt_f32_f16_e32 v2, v3
	v_cvt_f32_f16_sdwa v3, v3 dst_sel:DWORD dst_unused:UNUSED_PAD src0_sel:WORD_1
	global_store_dwordx4 v[4:5], v[0:3], off
.LBB6_2:
	s_endpgm
	.section	.rodata,"a",@progbits
	.p2align	6, 0x0
	.amdhsa_kernel _Z35dtype_convert_fp32_fp16_vec4_kernelILi256EEvPKfPfi
		.amdhsa_group_segment_fixed_size 0
		.amdhsa_private_segment_fixed_size 0
		.amdhsa_kernarg_size 20
		.amdhsa_user_sgpr_count 2
		.amdhsa_user_sgpr_dispatch_ptr 0
		.amdhsa_user_sgpr_queue_ptr 0
		.amdhsa_user_sgpr_kernarg_segment_ptr 1
		.amdhsa_user_sgpr_dispatch_id 0
		.amdhsa_user_sgpr_kernarg_preload_length 0
		.amdhsa_user_sgpr_kernarg_preload_offset 0
		.amdhsa_user_sgpr_private_segment_size 0
		.amdhsa_uses_dynamic_stack 0
		.amdhsa_enable_private_segment 0
		.amdhsa_system_sgpr_workgroup_id_x 1
		.amdhsa_system_sgpr_workgroup_id_y 0
		.amdhsa_system_sgpr_workgroup_id_z 0
		.amdhsa_system_sgpr_workgroup_info 0
		.amdhsa_system_vgpr_workitem_id 0
		.amdhsa_next_free_vgpr 6
		.amdhsa_next_free_sgpr 4
		.amdhsa_accum_offset 8
		.amdhsa_reserve_vcc 1
		.amdhsa_float_round_mode_32 0
		.amdhsa_float_round_mode_16_64 0
		.amdhsa_float_denorm_mode_32 3
		.amdhsa_float_denorm_mode_16_64 3
		.amdhsa_dx10_clamp 1
		.amdhsa_ieee_mode 1
		.amdhsa_fp16_overflow 0
		.amdhsa_tg_split 0
		.amdhsa_exception_fp_ieee_invalid_op 0
		.amdhsa_exception_fp_denorm_src 0
		.amdhsa_exception_fp_ieee_div_zero 0
		.amdhsa_exception_fp_ieee_overflow 0
		.amdhsa_exception_fp_ieee_underflow 0
		.amdhsa_exception_fp_ieee_inexact 0
		.amdhsa_exception_int_div_zero 0
	.end_amdhsa_kernel
	.section	.text._Z35dtype_convert_fp32_fp16_vec4_kernelILi256EEvPKfPfi,"axG",@progbits,_Z35dtype_convert_fp32_fp16_vec4_kernelILi256EEvPKfPfi,comdat
.Lfunc_end6:
	.size	_Z35dtype_convert_fp32_fp16_vec4_kernelILi256EEvPKfPfi, .Lfunc_end6-_Z35dtype_convert_fp32_fp16_vec4_kernelILi256EEvPKfPfi
                                        ; -- End function
	.set _Z35dtype_convert_fp32_fp16_vec4_kernelILi256EEvPKfPfi.num_vgpr, 6
	.set _Z35dtype_convert_fp32_fp16_vec4_kernelILi256EEvPKfPfi.num_agpr, 0
	.set _Z35dtype_convert_fp32_fp16_vec4_kernelILi256EEvPKfPfi.numbered_sgpr, 4
	.set _Z35dtype_convert_fp32_fp16_vec4_kernelILi256EEvPKfPfi.num_named_barrier, 0
	.set _Z35dtype_convert_fp32_fp16_vec4_kernelILi256EEvPKfPfi.private_seg_size, 0
	.set _Z35dtype_convert_fp32_fp16_vec4_kernelILi256EEvPKfPfi.uses_vcc, 1
	.set _Z35dtype_convert_fp32_fp16_vec4_kernelILi256EEvPKfPfi.uses_flat_scratch, 0
	.set _Z35dtype_convert_fp32_fp16_vec4_kernelILi256EEvPKfPfi.has_dyn_sized_stack, 0
	.set _Z35dtype_convert_fp32_fp16_vec4_kernelILi256EEvPKfPfi.has_recursion, 0
	.set _Z35dtype_convert_fp32_fp16_vec4_kernelILi256EEvPKfPfi.has_indirect_call, 0
	.section	.AMDGPU.csdata,"",@progbits
; Kernel info:
; codeLenInByte = 140
; TotalNumSgprs: 10
; NumVgprs: 6
; NumAgprs: 0
; TotalNumVgprs: 6
; ScratchSize: 0
; MemoryBound: 0
; FloatMode: 240
; IeeeMode: 1
; LDSByteSize: 0 bytes/workgroup (compile time only)
; SGPRBlocks: 1
; VGPRBlocks: 0
; NumSGPRsForWavesPerEU: 10
; NumVGPRsForWavesPerEU: 6
; AccumOffset: 8
; Occupancy: 8
; WaveLimiterHint : 0
; COMPUTE_PGM_RSRC2:SCRATCH_EN: 0
; COMPUTE_PGM_RSRC2:USER_SGPR: 2
; COMPUTE_PGM_RSRC2:TRAP_HANDLER: 0
; COMPUTE_PGM_RSRC2:TGID_X_EN: 1
; COMPUTE_PGM_RSRC2:TGID_Y_EN: 0
; COMPUTE_PGM_RSRC2:TGID_Z_EN: 0
; COMPUTE_PGM_RSRC2:TIDIG_COMP_CNT: 0
; COMPUTE_PGM_RSRC3_GFX90A:ACCUM_OFFSET: 1
; COMPUTE_PGM_RSRC3_GFX90A:TG_SPLIT: 0
	.section	.text._Z32dtype_convert_fp32_fp8_x2_kernelILi256EEvPKfPfi,"axG",@progbits,_Z32dtype_convert_fp32_fp8_x2_kernelILi256EEvPKfPfi,comdat
	.protected	_Z32dtype_convert_fp32_fp8_x2_kernelILi256EEvPKfPfi ; -- Begin function _Z32dtype_convert_fp32_fp8_x2_kernelILi256EEvPKfPfi
	.globl	_Z32dtype_convert_fp32_fp8_x2_kernelILi256EEvPKfPfi
	.p2align	8
	.type	_Z32dtype_convert_fp32_fp8_x2_kernelILi256EEvPKfPfi,@function
_Z32dtype_convert_fp32_fp8_x2_kernelILi256EEvPKfPfi: ; @_Z32dtype_convert_fp32_fp8_x2_kernelILi256EEvPKfPfi
; %bb.0:
	s_load_dword s3, s[0:1], 0x10
	v_lshlrev_b32_e32 v0, 1, v0
	v_lshl_add_u32 v0, s2, 9, v0
	s_waitcnt lgkmcnt(0)
	v_cmp_gt_i32_e32 vcc, s3, v0
	s_and_saveexec_b64 s[2:3], vcc
	s_cbranch_execz .LBB7_2
; %bb.1:
	s_load_dwordx4 s[0:3], s[0:1], 0x0
	v_ashrrev_i32_e32 v1, 31, v0
	v_lshlrev_b64 v[0:1], 2, v[0:1]
	s_waitcnt lgkmcnt(0)
	v_lshl_add_u64 v[2:3], s[0:1], 0, v[0:1]
	global_load_dwordx2 v[2:3], v[2:3], off
	v_lshl_add_u64 v[0:1], s[2:3], 0, v[0:1]
	s_waitcnt vmcnt(0)
	v_cvt_pk_fp8_f32 v2, v2, v3
	v_and_b32_e32 v2, 0xffff, v2
	v_cvt_pk_f32_fp8_e32 v[2:3], v2
	global_store_dwordx2 v[0:1], v[2:3], off
.LBB7_2:
	s_endpgm
	.section	.rodata,"a",@progbits
	.p2align	6, 0x0
	.amdhsa_kernel _Z32dtype_convert_fp32_fp8_x2_kernelILi256EEvPKfPfi
		.amdhsa_group_segment_fixed_size 0
		.amdhsa_private_segment_fixed_size 0
		.amdhsa_kernarg_size 20
		.amdhsa_user_sgpr_count 2
		.amdhsa_user_sgpr_dispatch_ptr 0
		.amdhsa_user_sgpr_queue_ptr 0
		.amdhsa_user_sgpr_kernarg_segment_ptr 1
		.amdhsa_user_sgpr_dispatch_id 0
		.amdhsa_user_sgpr_kernarg_preload_length 0
		.amdhsa_user_sgpr_kernarg_preload_offset 0
		.amdhsa_user_sgpr_private_segment_size 0
		.amdhsa_uses_dynamic_stack 0
		.amdhsa_enable_private_segment 0
		.amdhsa_system_sgpr_workgroup_id_x 1
		.amdhsa_system_sgpr_workgroup_id_y 0
		.amdhsa_system_sgpr_workgroup_id_z 0
		.amdhsa_system_sgpr_workgroup_info 0
		.amdhsa_system_vgpr_workitem_id 0
		.amdhsa_next_free_vgpr 4
		.amdhsa_next_free_sgpr 4
		.amdhsa_accum_offset 4
		.amdhsa_reserve_vcc 1
		.amdhsa_float_round_mode_32 0
		.amdhsa_float_round_mode_16_64 0
		.amdhsa_float_denorm_mode_32 3
		.amdhsa_float_denorm_mode_16_64 3
		.amdhsa_dx10_clamp 1
		.amdhsa_ieee_mode 1
		.amdhsa_fp16_overflow 0
		.amdhsa_tg_split 0
		.amdhsa_exception_fp_ieee_invalid_op 0
		.amdhsa_exception_fp_denorm_src 0
		.amdhsa_exception_fp_ieee_div_zero 0
		.amdhsa_exception_fp_ieee_overflow 0
		.amdhsa_exception_fp_ieee_underflow 0
		.amdhsa_exception_fp_ieee_inexact 0
		.amdhsa_exception_int_div_zero 0
	.end_amdhsa_kernel
	.section	.text._Z32dtype_convert_fp32_fp8_x2_kernelILi256EEvPKfPfi,"axG",@progbits,_Z32dtype_convert_fp32_fp8_x2_kernelILi256EEvPKfPfi,comdat
.Lfunc_end7:
	.size	_Z32dtype_convert_fp32_fp8_x2_kernelILi256EEvPKfPfi, .Lfunc_end7-_Z32dtype_convert_fp32_fp8_x2_kernelILi256EEvPKfPfi
                                        ; -- End function
	.set _Z32dtype_convert_fp32_fp8_x2_kernelILi256EEvPKfPfi.num_vgpr, 4
	.set _Z32dtype_convert_fp32_fp8_x2_kernelILi256EEvPKfPfi.num_agpr, 0
	.set _Z32dtype_convert_fp32_fp8_x2_kernelILi256EEvPKfPfi.numbered_sgpr, 4
	.set _Z32dtype_convert_fp32_fp8_x2_kernelILi256EEvPKfPfi.num_named_barrier, 0
	.set _Z32dtype_convert_fp32_fp8_x2_kernelILi256EEvPKfPfi.private_seg_size, 0
	.set _Z32dtype_convert_fp32_fp8_x2_kernelILi256EEvPKfPfi.uses_vcc, 1
	.set _Z32dtype_convert_fp32_fp8_x2_kernelILi256EEvPKfPfi.uses_flat_scratch, 0
	.set _Z32dtype_convert_fp32_fp8_x2_kernelILi256EEvPKfPfi.has_dyn_sized_stack, 0
	.set _Z32dtype_convert_fp32_fp8_x2_kernelILi256EEvPKfPfi.has_recursion, 0
	.set _Z32dtype_convert_fp32_fp8_x2_kernelILi256EEvPKfPfi.has_indirect_call, 0
	.section	.AMDGPU.csdata,"",@progbits
; Kernel info:
; codeLenInByte = 120
; TotalNumSgprs: 10
; NumVgprs: 4
; NumAgprs: 0
; TotalNumVgprs: 4
; ScratchSize: 0
; MemoryBound: 0
; FloatMode: 240
; IeeeMode: 1
; LDSByteSize: 0 bytes/workgroup (compile time only)
; SGPRBlocks: 1
; VGPRBlocks: 0
; NumSGPRsForWavesPerEU: 10
; NumVGPRsForWavesPerEU: 4
; AccumOffset: 4
; Occupancy: 8
; WaveLimiterHint : 0
; COMPUTE_PGM_RSRC2:SCRATCH_EN: 0
; COMPUTE_PGM_RSRC2:USER_SGPR: 2
; COMPUTE_PGM_RSRC2:TRAP_HANDLER: 0
; COMPUTE_PGM_RSRC2:TGID_X_EN: 1
; COMPUTE_PGM_RSRC2:TGID_Y_EN: 0
; COMPUTE_PGM_RSRC2:TGID_Z_EN: 0
; COMPUTE_PGM_RSRC2:TIDIG_COMP_CNT: 0
; COMPUTE_PGM_RSRC3_GFX90A:ACCUM_OFFSET: 0
; COMPUTE_PGM_RSRC3_GFX90A:TG_SPLIT: 0
	.section	.text._Z34dtype_convert_fp32_fp8_vec8_kernelILi256EEvPKfPfi,"axG",@progbits,_Z34dtype_convert_fp32_fp8_vec8_kernelILi256EEvPKfPfi,comdat
	.protected	_Z34dtype_convert_fp32_fp8_vec8_kernelILi256EEvPKfPfi ; -- Begin function _Z34dtype_convert_fp32_fp8_vec8_kernelILi256EEvPKfPfi
	.globl	_Z34dtype_convert_fp32_fp8_vec8_kernelILi256EEvPKfPfi
	.p2align	8
	.type	_Z34dtype_convert_fp32_fp8_vec8_kernelILi256EEvPKfPfi,@function
_Z34dtype_convert_fp32_fp8_vec8_kernelILi256EEvPKfPfi: ; @_Z34dtype_convert_fp32_fp8_vec8_kernelILi256EEvPKfPfi
; %bb.0:
	s_load_dword s3, s[0:1], 0x10
	v_lshlrev_b32_e32 v0, 3, v0
	v_lshl_add_u32 v0, s2, 11, v0
	s_waitcnt lgkmcnt(0)
	v_cmp_gt_i32_e32 vcc, s3, v0
	s_and_saveexec_b64 s[2:3], vcc
	s_cbranch_execz .LBB8_2
; %bb.1:
	s_load_dwordx4 s[0:3], s[0:1], 0x0
	v_ashrrev_i32_e32 v1, 31, v0
	v_lshlrev_b64 v[8:9], 2, v[0:1]
	s_waitcnt lgkmcnt(0)
	v_lshl_add_u64 v[10:11], s[0:1], 0, v[8:9]
	global_load_dwordx4 v[0:3], v[10:11], off
	global_load_dwordx4 v[4:7], v[10:11], off offset:16
	v_lshl_add_u64 v[8:9], s[2:3], 0, v[8:9]
	s_waitcnt vmcnt(1)
	v_cvt_pk_fp8_f32 v10, v0, v1
	s_waitcnt vmcnt(0)
	v_cvt_pk_fp8_f32 v11, v4, v5
	v_cvt_pk_fp8_f32 v10, v2, v3 op_sel:[0,0,1]
	v_cvt_pk_fp8_f32 v11, v6, v7 op_sel:[0,0,1]
	v_cvt_pk_f32_fp8_e32 v[0:1], v10
	v_cvt_pk_f32_fp8_sdwa v[2:3], v10 src0_sel:WORD_1
	v_cvt_pk_f32_fp8_e32 v[4:5], v11
	v_cvt_pk_f32_fp8_sdwa v[6:7], v11 src0_sel:WORD_1
	global_store_dwordx4 v[8:9], v[0:3], off
	global_store_dwordx4 v[8:9], v[4:7], off offset:16
.LBB8_2:
	s_endpgm
	.section	.rodata,"a",@progbits
	.p2align	6, 0x0
	.amdhsa_kernel _Z34dtype_convert_fp32_fp8_vec8_kernelILi256EEvPKfPfi
		.amdhsa_group_segment_fixed_size 0
		.amdhsa_private_segment_fixed_size 0
		.amdhsa_kernarg_size 20
		.amdhsa_user_sgpr_count 2
		.amdhsa_user_sgpr_dispatch_ptr 0
		.amdhsa_user_sgpr_queue_ptr 0
		.amdhsa_user_sgpr_kernarg_segment_ptr 1
		.amdhsa_user_sgpr_dispatch_id 0
		.amdhsa_user_sgpr_kernarg_preload_length 0
		.amdhsa_user_sgpr_kernarg_preload_offset 0
		.amdhsa_user_sgpr_private_segment_size 0
		.amdhsa_uses_dynamic_stack 0
		.amdhsa_enable_private_segment 0
		.amdhsa_system_sgpr_workgroup_id_x 1
		.amdhsa_system_sgpr_workgroup_id_y 0
		.amdhsa_system_sgpr_workgroup_id_z 0
		.amdhsa_system_sgpr_workgroup_info 0
		.amdhsa_system_vgpr_workitem_id 0
		.amdhsa_next_free_vgpr 12
		.amdhsa_next_free_sgpr 4
		.amdhsa_accum_offset 12
		.amdhsa_reserve_vcc 1
		.amdhsa_float_round_mode_32 0
		.amdhsa_float_round_mode_16_64 0
		.amdhsa_float_denorm_mode_32 3
		.amdhsa_float_denorm_mode_16_64 3
		.amdhsa_dx10_clamp 1
		.amdhsa_ieee_mode 1
		.amdhsa_fp16_overflow 0
		.amdhsa_tg_split 0
		.amdhsa_exception_fp_ieee_invalid_op 0
		.amdhsa_exception_fp_denorm_src 0
		.amdhsa_exception_fp_ieee_div_zero 0
		.amdhsa_exception_fp_ieee_overflow 0
		.amdhsa_exception_fp_ieee_underflow 0
		.amdhsa_exception_fp_ieee_inexact 0
		.amdhsa_exception_int_div_zero 0
	.end_amdhsa_kernel
	.section	.text._Z34dtype_convert_fp32_fp8_vec8_kernelILi256EEvPKfPfi,"axG",@progbits,_Z34dtype_convert_fp32_fp8_vec8_kernelILi256EEvPKfPfi,comdat
.Lfunc_end8:
	.size	_Z34dtype_convert_fp32_fp8_vec8_kernelILi256EEvPKfPfi, .Lfunc_end8-_Z34dtype_convert_fp32_fp8_vec8_kernelILi256EEvPKfPfi
                                        ; -- End function
	.set _Z34dtype_convert_fp32_fp8_vec8_kernelILi256EEvPKfPfi.num_vgpr, 12
	.set _Z34dtype_convert_fp32_fp8_vec8_kernelILi256EEvPKfPfi.num_agpr, 0
	.set _Z34dtype_convert_fp32_fp8_vec8_kernelILi256EEvPKfPfi.numbered_sgpr, 4
	.set _Z34dtype_convert_fp32_fp8_vec8_kernelILi256EEvPKfPfi.num_named_barrier, 0
	.set _Z34dtype_convert_fp32_fp8_vec8_kernelILi256EEvPKfPfi.private_seg_size, 0
	.set _Z34dtype_convert_fp32_fp8_vec8_kernelILi256EEvPKfPfi.uses_vcc, 1
	.set _Z34dtype_convert_fp32_fp8_vec8_kernelILi256EEvPKfPfi.uses_flat_scratch, 0
	.set _Z34dtype_convert_fp32_fp8_vec8_kernelILi256EEvPKfPfi.has_dyn_sized_stack, 0
	.set _Z34dtype_convert_fp32_fp8_vec8_kernelILi256EEvPKfPfi.has_recursion, 0
	.set _Z34dtype_convert_fp32_fp8_vec8_kernelILi256EEvPKfPfi.has_indirect_call, 0
	.section	.AMDGPU.csdata,"",@progbits
; Kernel info:
; codeLenInByte = 176
; TotalNumSgprs: 10
; NumVgprs: 12
; NumAgprs: 0
; TotalNumVgprs: 12
; ScratchSize: 0
; MemoryBound: 0
; FloatMode: 240
; IeeeMode: 1
; LDSByteSize: 0 bytes/workgroup (compile time only)
; SGPRBlocks: 1
; VGPRBlocks: 1
; NumSGPRsForWavesPerEU: 10
; NumVGPRsForWavesPerEU: 12
; AccumOffset: 12
; Occupancy: 8
; WaveLimiterHint : 0
; COMPUTE_PGM_RSRC2:SCRATCH_EN: 0
; COMPUTE_PGM_RSRC2:USER_SGPR: 2
; COMPUTE_PGM_RSRC2:TRAP_HANDLER: 0
; COMPUTE_PGM_RSRC2:TGID_X_EN: 1
; COMPUTE_PGM_RSRC2:TGID_Y_EN: 0
; COMPUTE_PGM_RSRC2:TGID_Z_EN: 0
; COMPUTE_PGM_RSRC2:TIDIG_COMP_CNT: 0
; COMPUTE_PGM_RSRC3_GFX90A:ACCUM_OFFSET: 2
; COMPUTE_PGM_RSRC3_GFX90A:TG_SPLIT: 0
	.section	.text._Z32dtype_convert_fp32_fp4_x2_kernelILi256EEvPKfPfi,"axG",@progbits,_Z32dtype_convert_fp32_fp4_x2_kernelILi256EEvPKfPfi,comdat
	.protected	_Z32dtype_convert_fp32_fp4_x2_kernelILi256EEvPKfPfi ; -- Begin function _Z32dtype_convert_fp32_fp4_x2_kernelILi256EEvPKfPfi
	.globl	_Z32dtype_convert_fp32_fp4_x2_kernelILi256EEvPKfPfi
	.p2align	8
	.type	_Z32dtype_convert_fp32_fp4_x2_kernelILi256EEvPKfPfi,@function
_Z32dtype_convert_fp32_fp4_x2_kernelILi256EEvPKfPfi: ; @_Z32dtype_convert_fp32_fp4_x2_kernelILi256EEvPKfPfi
; %bb.0:
	s_load_dword s3, s[0:1], 0x10
	v_lshlrev_b32_e32 v0, 1, v0
	v_lshl_add_u32 v0, s2, 9, v0
	s_waitcnt lgkmcnt(0)
	v_cmp_gt_i32_e32 vcc, s3, v0
	s_and_saveexec_b64 s[2:3], vcc
	s_cbranch_execz .LBB9_2
; %bb.1:
	s_load_dwordx4 s[0:3], s[0:1], 0x0
	v_ashrrev_i32_e32 v1, 31, v0
	v_lshlrev_b64 v[0:1], 2, v[0:1]
	s_waitcnt lgkmcnt(0)
	v_lshl_add_u64 v[2:3], s[0:1], 0, v[0:1]
	global_load_dwordx2 v[2:3], v[2:3], off
	v_lshl_add_u64 v[0:1], s[2:3], 0, v[0:1]
	s_waitcnt vmcnt(0)
	v_cvt_scalef32_pk_fp4_f32 v2, v2, v3, 1.0
	v_and_b32_e32 v2, 0xff, v2
	v_cvt_scalef32_pk_f32_fp4 v[2:3], v2, 1.0
	global_store_dwordx2 v[0:1], v[2:3], off
.LBB9_2:
	s_endpgm
	.section	.rodata,"a",@progbits
	.p2align	6, 0x0
	.amdhsa_kernel _Z32dtype_convert_fp32_fp4_x2_kernelILi256EEvPKfPfi
		.amdhsa_group_segment_fixed_size 0
		.amdhsa_private_segment_fixed_size 0
		.amdhsa_kernarg_size 20
		.amdhsa_user_sgpr_count 2
		.amdhsa_user_sgpr_dispatch_ptr 0
		.amdhsa_user_sgpr_queue_ptr 0
		.amdhsa_user_sgpr_kernarg_segment_ptr 1
		.amdhsa_user_sgpr_dispatch_id 0
		.amdhsa_user_sgpr_kernarg_preload_length 0
		.amdhsa_user_sgpr_kernarg_preload_offset 0
		.amdhsa_user_sgpr_private_segment_size 0
		.amdhsa_uses_dynamic_stack 0
		.amdhsa_enable_private_segment 0
		.amdhsa_system_sgpr_workgroup_id_x 1
		.amdhsa_system_sgpr_workgroup_id_y 0
		.amdhsa_system_sgpr_workgroup_id_z 0
		.amdhsa_system_sgpr_workgroup_info 0
		.amdhsa_system_vgpr_workitem_id 0
		.amdhsa_next_free_vgpr 4
		.amdhsa_next_free_sgpr 4
		.amdhsa_accum_offset 4
		.amdhsa_reserve_vcc 1
		.amdhsa_float_round_mode_32 0
		.amdhsa_float_round_mode_16_64 0
		.amdhsa_float_denorm_mode_32 3
		.amdhsa_float_denorm_mode_16_64 3
		.amdhsa_dx10_clamp 1
		.amdhsa_ieee_mode 1
		.amdhsa_fp16_overflow 0
		.amdhsa_tg_split 0
		.amdhsa_exception_fp_ieee_invalid_op 0
		.amdhsa_exception_fp_denorm_src 0
		.amdhsa_exception_fp_ieee_div_zero 0
		.amdhsa_exception_fp_ieee_overflow 0
		.amdhsa_exception_fp_ieee_underflow 0
		.amdhsa_exception_fp_ieee_inexact 0
		.amdhsa_exception_int_div_zero 0
	.end_amdhsa_kernel
	.section	.text._Z32dtype_convert_fp32_fp4_x2_kernelILi256EEvPKfPfi,"axG",@progbits,_Z32dtype_convert_fp32_fp4_x2_kernelILi256EEvPKfPfi,comdat
.Lfunc_end9:
	.size	_Z32dtype_convert_fp32_fp4_x2_kernelILi256EEvPKfPfi, .Lfunc_end9-_Z32dtype_convert_fp32_fp4_x2_kernelILi256EEvPKfPfi
                                        ; -- End function
	.set _Z32dtype_convert_fp32_fp4_x2_kernelILi256EEvPKfPfi.num_vgpr, 4
	.set _Z32dtype_convert_fp32_fp4_x2_kernelILi256EEvPKfPfi.num_agpr, 0
	.set _Z32dtype_convert_fp32_fp4_x2_kernelILi256EEvPKfPfi.numbered_sgpr, 4
	.set _Z32dtype_convert_fp32_fp4_x2_kernelILi256EEvPKfPfi.num_named_barrier, 0
	.set _Z32dtype_convert_fp32_fp4_x2_kernelILi256EEvPKfPfi.private_seg_size, 0
	.set _Z32dtype_convert_fp32_fp4_x2_kernelILi256EEvPKfPfi.uses_vcc, 1
	.set _Z32dtype_convert_fp32_fp4_x2_kernelILi256EEvPKfPfi.uses_flat_scratch, 0
	.set _Z32dtype_convert_fp32_fp4_x2_kernelILi256EEvPKfPfi.has_dyn_sized_stack, 0
	.set _Z32dtype_convert_fp32_fp4_x2_kernelILi256EEvPKfPfi.has_recursion, 0
	.set _Z32dtype_convert_fp32_fp4_x2_kernelILi256EEvPKfPfi.has_indirect_call, 0
	.section	.AMDGPU.csdata,"",@progbits
; Kernel info:
; codeLenInByte = 124
; TotalNumSgprs: 10
; NumVgprs: 4
; NumAgprs: 0
; TotalNumVgprs: 4
; ScratchSize: 0
; MemoryBound: 0
; FloatMode: 240
; IeeeMode: 1
; LDSByteSize: 0 bytes/workgroup (compile time only)
; SGPRBlocks: 1
; VGPRBlocks: 0
; NumSGPRsForWavesPerEU: 10
; NumVGPRsForWavesPerEU: 4
; AccumOffset: 4
; Occupancy: 8
; WaveLimiterHint : 0
; COMPUTE_PGM_RSRC2:SCRATCH_EN: 0
; COMPUTE_PGM_RSRC2:USER_SGPR: 2
; COMPUTE_PGM_RSRC2:TRAP_HANDLER: 0
; COMPUTE_PGM_RSRC2:TGID_X_EN: 1
; COMPUTE_PGM_RSRC2:TGID_Y_EN: 0
; COMPUTE_PGM_RSRC2:TGID_Z_EN: 0
; COMPUTE_PGM_RSRC2:TIDIG_COMP_CNT: 0
; COMPUTE_PGM_RSRC3_GFX90A:ACCUM_OFFSET: 0
; COMPUTE_PGM_RSRC3_GFX90A:TG_SPLIT: 0
	.section	.text._Z32dtype_convert_fp32_fp4_x4_kernelILi256EEvPKfPfi,"axG",@progbits,_Z32dtype_convert_fp32_fp4_x4_kernelILi256EEvPKfPfi,comdat
	.protected	_Z32dtype_convert_fp32_fp4_x4_kernelILi256EEvPKfPfi ; -- Begin function _Z32dtype_convert_fp32_fp4_x4_kernelILi256EEvPKfPfi
	.globl	_Z32dtype_convert_fp32_fp4_x4_kernelILi256EEvPKfPfi
	.p2align	8
	.type	_Z32dtype_convert_fp32_fp4_x4_kernelILi256EEvPKfPfi,@function
_Z32dtype_convert_fp32_fp4_x4_kernelILi256EEvPKfPfi: ; @_Z32dtype_convert_fp32_fp4_x4_kernelILi256EEvPKfPfi
; %bb.0:
	s_load_dword s3, s[0:1], 0x10
	v_lshlrev_b32_e32 v0, 2, v0
	v_lshl_add_u32 v0, s2, 10, v0
	s_waitcnt lgkmcnt(0)
	v_cmp_gt_i32_e32 vcc, s3, v0
	s_and_saveexec_b64 s[2:3], vcc
	s_cbranch_execz .LBB10_2
; %bb.1:
	s_load_dwordx4 s[0:3], s[0:1], 0x0
	v_ashrrev_i32_e32 v1, 31, v0
	v_lshlrev_b64 v[4:5], 2, v[0:1]
	s_waitcnt lgkmcnt(0)
	v_lshl_add_u64 v[0:1], s[0:1], 0, v[4:5]
	global_load_dwordx4 v[0:3], v[0:1], off
	v_lshl_add_u64 v[4:5], s[2:3], 0, v[4:5]
	s_waitcnt vmcnt(0)
	v_cvt_scalef32_pk_fp4_f32 v0, v0, v1, 1.0
	v_cvt_scalef32_pk_fp4_f32 v0, v2, v3, 1.0 op_sel:[0,0,1,0]
	s_nop 0
	v_and_b32_e32 v2, 0xffff, v0
	v_cvt_scalef32_pk_f32_fp4 v[0:1], v2, 1.0
	v_cvt_scalef32_pk_f32_fp4 v[2:3], v2, 1.0 op_sel:[1,0,0]
	global_store_dwordx4 v[4:5], v[0:3], off
.LBB10_2:
	s_endpgm
	.section	.rodata,"a",@progbits
	.p2align	6, 0x0
	.amdhsa_kernel _Z32dtype_convert_fp32_fp4_x4_kernelILi256EEvPKfPfi
		.amdhsa_group_segment_fixed_size 0
		.amdhsa_private_segment_fixed_size 0
		.amdhsa_kernarg_size 20
		.amdhsa_user_sgpr_count 2
		.amdhsa_user_sgpr_dispatch_ptr 0
		.amdhsa_user_sgpr_queue_ptr 0
		.amdhsa_user_sgpr_kernarg_segment_ptr 1
		.amdhsa_user_sgpr_dispatch_id 0
		.amdhsa_user_sgpr_kernarg_preload_length 0
		.amdhsa_user_sgpr_kernarg_preload_offset 0
		.amdhsa_user_sgpr_private_segment_size 0
		.amdhsa_uses_dynamic_stack 0
		.amdhsa_enable_private_segment 0
		.amdhsa_system_sgpr_workgroup_id_x 1
		.amdhsa_system_sgpr_workgroup_id_y 0
		.amdhsa_system_sgpr_workgroup_id_z 0
		.amdhsa_system_sgpr_workgroup_info 0
		.amdhsa_system_vgpr_workitem_id 0
		.amdhsa_next_free_vgpr 6
		.amdhsa_next_free_sgpr 4
		.amdhsa_accum_offset 8
		.amdhsa_reserve_vcc 1
		.amdhsa_float_round_mode_32 0
		.amdhsa_float_round_mode_16_64 0
		.amdhsa_float_denorm_mode_32 3
		.amdhsa_float_denorm_mode_16_64 3
		.amdhsa_dx10_clamp 1
		.amdhsa_ieee_mode 1
		.amdhsa_fp16_overflow 0
		.amdhsa_tg_split 0
		.amdhsa_exception_fp_ieee_invalid_op 0
		.amdhsa_exception_fp_denorm_src 0
		.amdhsa_exception_fp_ieee_div_zero 0
		.amdhsa_exception_fp_ieee_overflow 0
		.amdhsa_exception_fp_ieee_underflow 0
		.amdhsa_exception_fp_ieee_inexact 0
		.amdhsa_exception_int_div_zero 0
	.end_amdhsa_kernel
	.section	.text._Z32dtype_convert_fp32_fp4_x4_kernelILi256EEvPKfPfi,"axG",@progbits,_Z32dtype_convert_fp32_fp4_x4_kernelILi256EEvPKfPfi,comdat
.Lfunc_end10:
	.size	_Z32dtype_convert_fp32_fp4_x4_kernelILi256EEvPKfPfi, .Lfunc_end10-_Z32dtype_convert_fp32_fp4_x4_kernelILi256EEvPKfPfi
                                        ; -- End function
	.set _Z32dtype_convert_fp32_fp4_x4_kernelILi256EEvPKfPfi.num_vgpr, 6
	.set _Z32dtype_convert_fp32_fp4_x4_kernelILi256EEvPKfPfi.num_agpr, 0
	.set _Z32dtype_convert_fp32_fp4_x4_kernelILi256EEvPKfPfi.numbered_sgpr, 4
	.set _Z32dtype_convert_fp32_fp4_x4_kernelILi256EEvPKfPfi.num_named_barrier, 0
	.set _Z32dtype_convert_fp32_fp4_x4_kernelILi256EEvPKfPfi.private_seg_size, 0
	.set _Z32dtype_convert_fp32_fp4_x4_kernelILi256EEvPKfPfi.uses_vcc, 1
	.set _Z32dtype_convert_fp32_fp4_x4_kernelILi256EEvPKfPfi.uses_flat_scratch, 0
	.set _Z32dtype_convert_fp32_fp4_x4_kernelILi256EEvPKfPfi.has_dyn_sized_stack, 0
	.set _Z32dtype_convert_fp32_fp4_x4_kernelILi256EEvPKfPfi.has_recursion, 0
	.set _Z32dtype_convert_fp32_fp4_x4_kernelILi256EEvPKfPfi.has_indirect_call, 0
	.section	.AMDGPU.csdata,"",@progbits
; Kernel info:
; codeLenInByte = 144
; TotalNumSgprs: 10
; NumVgprs: 6
; NumAgprs: 0
; TotalNumVgprs: 6
; ScratchSize: 0
; MemoryBound: 0
; FloatMode: 240
; IeeeMode: 1
; LDSByteSize: 0 bytes/workgroup (compile time only)
; SGPRBlocks: 1
; VGPRBlocks: 0
; NumSGPRsForWavesPerEU: 10
; NumVGPRsForWavesPerEU: 6
; AccumOffset: 8
; Occupancy: 8
; WaveLimiterHint : 0
; COMPUTE_PGM_RSRC2:SCRATCH_EN: 0
; COMPUTE_PGM_RSRC2:USER_SGPR: 2
; COMPUTE_PGM_RSRC2:TRAP_HANDLER: 0
; COMPUTE_PGM_RSRC2:TGID_X_EN: 1
; COMPUTE_PGM_RSRC2:TGID_Y_EN: 0
; COMPUTE_PGM_RSRC2:TGID_Z_EN: 0
; COMPUTE_PGM_RSRC2:TIDIG_COMP_CNT: 0
; COMPUTE_PGM_RSRC3_GFX90A:ACCUM_OFFSET: 1
; COMPUTE_PGM_RSRC3_GFX90A:TG_SPLIT: 0
	.section	.AMDGPU.gpr_maximums,"",@progbits
	.set amdgpu.max_num_vgpr, 0
	.set amdgpu.max_num_agpr, 0
	.set amdgpu.max_num_sgpr, 0
	.section	.AMDGPU.csdata,"",@progbits
	.type	__hip_cuid_570b8ad2dc6d5a92,@object ; @__hip_cuid_570b8ad2dc6d5a92
	.section	.bss,"aw",@nobits
	.globl	__hip_cuid_570b8ad2dc6d5a92
__hip_cuid_570b8ad2dc6d5a92:
	.byte	0                               ; 0x0
	.size	__hip_cuid_570b8ad2dc6d5a92, 1

	.ident	"AMD clang version 22.0.0git (https://github.com/RadeonOpenCompute/llvm-project roc-7.2.4 26084 f58b06dce1f9c15707c5f808fd002e18c2accf7e)"
	.section	".note.GNU-stack","",@progbits
	.addrsig
	.addrsig_sym __hip_cuid_570b8ad2dc6d5a92
	.amdgpu_metadata
---
amdhsa.kernels:
  - .agpr_count:     0
    .args:
      - .actual_access:  read_only
        .address_space:  global
        .offset:         0
        .size:           8
        .value_kind:     global_buffer
      - .actual_access:  write_only
        .address_space:  global
        .offset:         8
        .size:           8
        .value_kind:     global_buffer
      - .offset:         16
        .size:           4
        .value_kind:     by_value
    .group_segment_fixed_size: 0
    .kernarg_segment_align: 8
    .kernarg_segment_size: 20
    .language:       OpenCL C
    .language_version:
      - 2
      - 0
    .max_flat_workgroup_size: 1024
    .name:           _Z30dtype_convert_fp32_bf16_kernelILi256EEvPKfPfi
    .private_segment_fixed_size: 0
    .sgpr_count:     10
    .sgpr_spill_count: 0
    .symbol:         _Z30dtype_convert_fp32_bf16_kernelILi256EEvPKfPfi.kd
    .uniform_work_group_size: 1
    .uses_dynamic_stack: false
    .vgpr_count:     4
    .vgpr_spill_count: 0
    .wavefront_size: 64
  - .agpr_count:     0
    .args:
      - .actual_access:  read_only
        .address_space:  global
        .offset:         0
        .size:           8
        .value_kind:     global_buffer
      - .actual_access:  write_only
        .address_space:  global
        .offset:         8
        .size:           8
        .value_kind:     global_buffer
      - .offset:         16
        .size:           4
        .value_kind:     by_value
    .group_segment_fixed_size: 0
    .kernarg_segment_align: 8
    .kernarg_segment_size: 20
    .language:       OpenCL C
    .language_version:
      - 2
      - 0
    .max_flat_workgroup_size: 1024
    .name:           _Z30dtype_convert_fp32_fp16_kernelILi256EEvPKfPfi
    .private_segment_fixed_size: 0
    .sgpr_count:     10
    .sgpr_spill_count: 0
    .symbol:         _Z30dtype_convert_fp32_fp16_kernelILi256EEvPKfPfi.kd
    .uniform_work_group_size: 1
    .uses_dynamic_stack: false
    .vgpr_count:     4
    .vgpr_spill_count: 0
    .wavefront_size: 64
  - .agpr_count:     0
    .args:
      - .actual_access:  read_only
        .address_space:  global
        .offset:         0
        .size:           8
        .value_kind:     global_buffer
      - .actual_access:  write_only
        .address_space:  global
        .offset:         8
        .size:           8
        .value_kind:     global_buffer
      - .offset:         16
        .size:           4
        .value_kind:     by_value
    .group_segment_fixed_size: 0
    .kernarg_segment_align: 8
    .kernarg_segment_size: 20
    .language:       OpenCL C
    .language_version:
      - 2
      - 0
    .max_flat_workgroup_size: 1024
    .name:           _Z29dtype_convert_fp32_fp8_kernelILi256EEvPKfPfi
    .private_segment_fixed_size: 0
    .sgpr_count:     10
    .sgpr_spill_count: 0
    .symbol:         _Z29dtype_convert_fp32_fp8_kernelILi256EEvPKfPfi.kd
    .uniform_work_group_size: 1
    .uses_dynamic_stack: false
    .vgpr_count:     7
    .vgpr_spill_count: 0
    .wavefront_size: 64
  - .agpr_count:     0
    .args:
      - .actual_access:  read_only
        .address_space:  global
        .offset:         0
        .size:           8
        .value_kind:     global_buffer
      - .actual_access:  write_only
        .address_space:  global
        .offset:         8
        .size:           8
        .value_kind:     global_buffer
      - .offset:         16
        .size:           4
        .value_kind:     by_value
    .group_segment_fixed_size: 0
    .kernarg_segment_align: 8
    .kernarg_segment_size: 20
    .language:       OpenCL C
    .language_version:
      - 2
      - 0
    .max_flat_workgroup_size: 1024
    .name:           _Z29dtype_convert_fp32_fp4_kernelILi256EEvPKfPfi
    .private_segment_fixed_size: 0
    .sgpr_count:     10
    .sgpr_spill_count: 0
    .symbol:         _Z29dtype_convert_fp32_fp4_kernelILi256EEvPKfPfi.kd
    .uniform_work_group_size: 1
    .uses_dynamic_stack: false
    .vgpr_count:     12
    .vgpr_spill_count: 0
    .wavefront_size: 64
  - .agpr_count:     0
    .args:
      - .actual_access:  read_only
        .address_space:  global
        .offset:         0
        .size:           8
        .value_kind:     global_buffer
      - .actual_access:  write_only
        .address_space:  global
        .offset:         8
        .size:           8
        .value_kind:     global_buffer
      - .offset:         16
        .size:           4
        .value_kind:     by_value
    .group_segment_fixed_size: 0
    .kernarg_segment_align: 8
    .kernarg_segment_size: 20
    .language:       OpenCL C
    .language_version:
      - 2
      - 0
    .max_flat_workgroup_size: 1024
    .name:           _Z36dtype_convert_fp32_fp8_scalar_kernelILi256EEvPKfPfi
    .private_segment_fixed_size: 0
    .sgpr_count:     10
    .sgpr_spill_count: 0
    .symbol:         _Z36dtype_convert_fp32_fp8_scalar_kernelILi256EEvPKfPfi.kd
    .uniform_work_group_size: 1
    .uses_dynamic_stack: false
    .vgpr_count:     4
    .vgpr_spill_count: 0
    .wavefront_size: 64
  - .agpr_count:     0
    .args:
      - .actual_access:  read_only
        .address_space:  global
        .offset:         0
        .size:           8
        .value_kind:     global_buffer
      - .actual_access:  write_only
        .address_space:  global
        .offset:         8
        .size:           8
        .value_kind:     global_buffer
      - .offset:         16
        .size:           4
        .value_kind:     by_value
    .group_segment_fixed_size: 0
    .kernarg_segment_align: 8
    .kernarg_segment_size: 20
    .language:       OpenCL C
    .language_version:
      - 2
      - 0
    .max_flat_workgroup_size: 1024
    .name:           _Z35dtype_convert_fp32_bf16_vec4_kernelILi256EEvPKfPfi
    .private_segment_fixed_size: 0
    .sgpr_count:     10
    .sgpr_spill_count: 0
    .symbol:         _Z35dtype_convert_fp32_bf16_vec4_kernelILi256EEvPKfPfi.kd
    .uniform_work_group_size: 1
    .uses_dynamic_stack: false
    .vgpr_count:     6
    .vgpr_spill_count: 0
    .wavefront_size: 64
  - .agpr_count:     0
    .args:
      - .actual_access:  read_only
        .address_space:  global
        .offset:         0
        .size:           8
        .value_kind:     global_buffer
      - .actual_access:  write_only
        .address_space:  global
        .offset:         8
        .size:           8
        .value_kind:     global_buffer
      - .offset:         16
        .size:           4
        .value_kind:     by_value
    .group_segment_fixed_size: 0
    .kernarg_segment_align: 8
    .kernarg_segment_size: 20
    .language:       OpenCL C
    .language_version:
      - 2
      - 0
    .max_flat_workgroup_size: 1024
    .name:           _Z35dtype_convert_fp32_fp16_vec4_kernelILi256EEvPKfPfi
    .private_segment_fixed_size: 0
    .sgpr_count:     10
    .sgpr_spill_count: 0
    .symbol:         _Z35dtype_convert_fp32_fp16_vec4_kernelILi256EEvPKfPfi.kd
    .uniform_work_group_size: 1
    .uses_dynamic_stack: false
    .vgpr_count:     6
    .vgpr_spill_count: 0
    .wavefront_size: 64
  - .agpr_count:     0
    .args:
      - .actual_access:  read_only
        .address_space:  global
        .offset:         0
        .size:           8
        .value_kind:     global_buffer
      - .actual_access:  write_only
        .address_space:  global
        .offset:         8
        .size:           8
        .value_kind:     global_buffer
      - .offset:         16
        .size:           4
        .value_kind:     by_value
    .group_segment_fixed_size: 0
    .kernarg_segment_align: 8
    .kernarg_segment_size: 20
    .language:       OpenCL C
    .language_version:
      - 2
      - 0
    .max_flat_workgroup_size: 1024
    .name:           _Z32dtype_convert_fp32_fp8_x2_kernelILi256EEvPKfPfi
    .private_segment_fixed_size: 0
    .sgpr_count:     10
    .sgpr_spill_count: 0
    .symbol:         _Z32dtype_convert_fp32_fp8_x2_kernelILi256EEvPKfPfi.kd
    .uniform_work_group_size: 1
    .uses_dynamic_stack: false
    .vgpr_count:     4
    .vgpr_spill_count: 0
    .wavefront_size: 64
  - .agpr_count:     0
    .args:
      - .actual_access:  read_only
        .address_space:  global
        .offset:         0
        .size:           8
        .value_kind:     global_buffer
      - .actual_access:  write_only
        .address_space:  global
        .offset:         8
        .size:           8
        .value_kind:     global_buffer
      - .offset:         16
        .size:           4
        .value_kind:     by_value
    .group_segment_fixed_size: 0
    .kernarg_segment_align: 8
    .kernarg_segment_size: 20
    .language:       OpenCL C
    .language_version:
      - 2
      - 0
    .max_flat_workgroup_size: 1024
    .name:           _Z34dtype_convert_fp32_fp8_vec8_kernelILi256EEvPKfPfi
    .private_segment_fixed_size: 0
    .sgpr_count:     10
    .sgpr_spill_count: 0
    .symbol:         _Z34dtype_convert_fp32_fp8_vec8_kernelILi256EEvPKfPfi.kd
    .uniform_work_group_size: 1
    .uses_dynamic_stack: false
    .vgpr_count:     12
    .vgpr_spill_count: 0
    .wavefront_size: 64
  - .agpr_count:     0
    .args:
      - .actual_access:  read_only
        .address_space:  global
        .offset:         0
        .size:           8
        .value_kind:     global_buffer
      - .actual_access:  write_only
        .address_space:  global
        .offset:         8
        .size:           8
        .value_kind:     global_buffer
      - .offset:         16
        .size:           4
        .value_kind:     by_value
    .group_segment_fixed_size: 0
    .kernarg_segment_align: 8
    .kernarg_segment_size: 20
    .language:       OpenCL C
    .language_version:
      - 2
      - 0
    .max_flat_workgroup_size: 1024
    .name:           _Z32dtype_convert_fp32_fp4_x2_kernelILi256EEvPKfPfi
    .private_segment_fixed_size: 0
    .sgpr_count:     10
    .sgpr_spill_count: 0
    .symbol:         _Z32dtype_convert_fp32_fp4_x2_kernelILi256EEvPKfPfi.kd
    .uniform_work_group_size: 1
    .uses_dynamic_stack: false
    .vgpr_count:     4
    .vgpr_spill_count: 0
    .wavefront_size: 64
  - .agpr_count:     0
    .args:
      - .actual_access:  read_only
        .address_space:  global
        .offset:         0
        .size:           8
        .value_kind:     global_buffer
      - .actual_access:  write_only
        .address_space:  global
        .offset:         8
        .size:           8
        .value_kind:     global_buffer
      - .offset:         16
        .size:           4
        .value_kind:     by_value
    .group_segment_fixed_size: 0
    .kernarg_segment_align: 8
    .kernarg_segment_size: 20
    .language:       OpenCL C
    .language_version:
      - 2
      - 0
    .max_flat_workgroup_size: 1024
    .name:           _Z32dtype_convert_fp32_fp4_x4_kernelILi256EEvPKfPfi
    .private_segment_fixed_size: 0
    .sgpr_count:     10
    .sgpr_spill_count: 0
    .symbol:         _Z32dtype_convert_fp32_fp4_x4_kernelILi256EEvPKfPfi.kd
    .uniform_work_group_size: 1
    .uses_dynamic_stack: false
    .vgpr_count:     6
    .vgpr_spill_count: 0
    .wavefront_size: 64
amdhsa.target:   amdgcn-amd-amdhsa--gfx950
amdhsa.version:
  - 1
  - 2
...

	.end_amdgpu_metadata
